;; amdgpu-corpus repo=ROCm/rocFFT kind=compiled arch=gfx950 opt=O3
	.text
	.amdgcn_target "amdgcn-amd-amdhsa--gfx950"
	.amdhsa_code_object_version 6
	.protected	fft_rtc_fwd_len528_factors_4_4_3_11_wgs_48_tpt_48_halfLds_sp_ip_CI_unitstride_sbrr_dirReg ; -- Begin function fft_rtc_fwd_len528_factors_4_4_3_11_wgs_48_tpt_48_halfLds_sp_ip_CI_unitstride_sbrr_dirReg
	.globl	fft_rtc_fwd_len528_factors_4_4_3_11_wgs_48_tpt_48_halfLds_sp_ip_CI_unitstride_sbrr_dirReg
	.p2align	8
	.type	fft_rtc_fwd_len528_factors_4_4_3_11_wgs_48_tpt_48_halfLds_sp_ip_CI_unitstride_sbrr_dirReg,@function
fft_rtc_fwd_len528_factors_4_4_3_11_wgs_48_tpt_48_halfLds_sp_ip_CI_unitstride_sbrr_dirReg: ; @fft_rtc_fwd_len528_factors_4_4_3_11_wgs_48_tpt_48_halfLds_sp_ip_CI_unitstride_sbrr_dirReg
; %bb.0:
	s_load_dwordx2 s[8:9], s[0:1], 0x50
	s_load_dwordx4 s[4:7], s[0:1], 0x0
	s_load_dwordx2 s[10:11], s[0:1], 0x18
	v_mul_u32_u24_e32 v1, 0x556, v0
	v_add_u32_sdwa v6, s2, v1 dst_sel:DWORD dst_unused:UNUSED_PAD src0_sel:DWORD src1_sel:WORD_1
	v_mov_b32_e32 v4, 0
	s_waitcnt lgkmcnt(0)
	v_cmp_lt_u64_e64 s[2:3], s[6:7], 2
	v_mov_b32_e32 v7, v4
	s_and_b64 vcc, exec, s[2:3]
	v_mov_b64_e32 v[2:3], 0
	s_cbranch_vccnz .LBB0_8
; %bb.1:
	s_load_dwordx2 s[2:3], s[0:1], 0x10
	s_add_u32 s12, s10, 8
	s_addc_u32 s13, s11, 0
	s_mov_b64 s[14:15], 1
	v_mov_b64_e32 v[2:3], 0
	s_waitcnt lgkmcnt(0)
	s_add_u32 s16, s2, 8
	s_addc_u32 s17, s3, 0
.LBB0_2:                                ; =>This Inner Loop Header: Depth=1
	s_load_dwordx2 s[18:19], s[16:17], 0x0
                                        ; implicit-def: $vgpr8_vgpr9
	s_waitcnt lgkmcnt(0)
	v_or_b32_e32 v5, s19, v7
	v_cmp_ne_u64_e32 vcc, 0, v[4:5]
	s_and_saveexec_b64 s[2:3], vcc
	s_xor_b64 s[20:21], exec, s[2:3]
	s_cbranch_execz .LBB0_4
; %bb.3:                                ;   in Loop: Header=BB0_2 Depth=1
	v_cvt_f32_u32_e32 v1, s18
	v_cvt_f32_u32_e32 v5, s19
	s_sub_u32 s2, 0, s18
	s_subb_u32 s3, 0, s19
	v_fmac_f32_e32 v1, 0x4f800000, v5
	v_rcp_f32_e32 v1, v1
	s_nop 0
	v_mul_f32_e32 v1, 0x5f7ffffc, v1
	v_mul_f32_e32 v5, 0x2f800000, v1
	v_trunc_f32_e32 v5, v5
	v_fmac_f32_e32 v1, 0xcf800000, v5
	v_cvt_u32_f32_e32 v5, v5
	v_cvt_u32_f32_e32 v1, v1
	v_mul_lo_u32 v8, s2, v5
	v_mul_hi_u32 v10, s2, v1
	v_mul_lo_u32 v9, s3, v1
	v_add_u32_e32 v10, v10, v8
	v_mul_lo_u32 v12, s2, v1
	v_add_u32_e32 v13, v10, v9
	v_mul_hi_u32 v8, v1, v12
	v_mul_hi_u32 v11, v1, v13
	v_mul_lo_u32 v10, v1, v13
	v_mov_b32_e32 v9, v4
	v_lshl_add_u64 v[8:9], v[8:9], 0, v[10:11]
	v_mul_hi_u32 v11, v5, v12
	v_mul_lo_u32 v12, v5, v12
	v_add_co_u32_e32 v8, vcc, v8, v12
	v_mul_hi_u32 v10, v5, v13
	s_nop 0
	v_addc_co_u32_e32 v8, vcc, v9, v11, vcc
	v_mov_b32_e32 v9, v4
	s_nop 0
	v_addc_co_u32_e32 v11, vcc, 0, v10, vcc
	v_mul_lo_u32 v10, v5, v13
	v_lshl_add_u64 v[8:9], v[8:9], 0, v[10:11]
	v_add_co_u32_e32 v1, vcc, v1, v8
	v_mul_lo_u32 v10, s2, v1
	s_nop 0
	v_addc_co_u32_e32 v5, vcc, v5, v9, vcc
	v_mul_lo_u32 v8, s2, v5
	v_mul_hi_u32 v9, s2, v1
	v_add_u32_e32 v8, v9, v8
	v_mul_lo_u32 v9, s3, v1
	v_add_u32_e32 v12, v8, v9
	v_mul_hi_u32 v14, v5, v10
	v_mul_lo_u32 v15, v5, v10
	v_mul_hi_u32 v9, v1, v12
	v_mul_lo_u32 v8, v1, v12
	v_mul_hi_u32 v10, v1, v10
	v_mov_b32_e32 v11, v4
	v_lshl_add_u64 v[8:9], v[10:11], 0, v[8:9]
	v_add_co_u32_e32 v8, vcc, v8, v15
	v_mul_hi_u32 v13, v5, v12
	s_nop 0
	v_addc_co_u32_e32 v8, vcc, v9, v14, vcc
	v_mul_lo_u32 v10, v5, v12
	s_nop 0
	v_addc_co_u32_e32 v11, vcc, 0, v13, vcc
	v_mov_b32_e32 v9, v4
	v_lshl_add_u64 v[8:9], v[8:9], 0, v[10:11]
	v_add_co_u32_e32 v1, vcc, v1, v8
	v_mul_hi_u32 v10, v6, v1
	s_nop 0
	v_addc_co_u32_e32 v5, vcc, v5, v9, vcc
	v_mad_u64_u32 v[8:9], s[2:3], v6, v5, 0
	v_mov_b32_e32 v11, v4
	v_lshl_add_u64 v[8:9], v[10:11], 0, v[8:9]
	v_mad_u64_u32 v[12:13], s[2:3], v7, v1, 0
	v_add_co_u32_e32 v1, vcc, v8, v12
	v_mad_u64_u32 v[10:11], s[2:3], v7, v5, 0
	s_nop 0
	v_addc_co_u32_e32 v8, vcc, v9, v13, vcc
	v_mov_b32_e32 v9, v4
	s_nop 0
	v_addc_co_u32_e32 v11, vcc, 0, v11, vcc
	v_lshl_add_u64 v[8:9], v[8:9], 0, v[10:11]
	v_mul_lo_u32 v1, s19, v8
	v_mul_lo_u32 v5, s18, v9
	v_mad_u64_u32 v[10:11], s[2:3], s18, v8, 0
	v_add3_u32 v1, v11, v5, v1
	v_sub_u32_e32 v5, v7, v1
	v_mov_b32_e32 v11, s19
	v_sub_co_u32_e32 v14, vcc, v6, v10
	v_lshl_add_u64 v[12:13], v[8:9], 0, 1
	s_nop 0
	v_subb_co_u32_e64 v5, s[2:3], v5, v11, vcc
	v_subrev_co_u32_e64 v10, s[2:3], s18, v14
	v_subb_co_u32_e32 v1, vcc, v7, v1, vcc
	s_nop 0
	v_subbrev_co_u32_e64 v5, s[2:3], 0, v5, s[2:3]
	v_cmp_le_u32_e64 s[2:3], s19, v5
	v_cmp_le_u32_e32 vcc, s19, v1
	s_nop 0
	v_cndmask_b32_e64 v11, 0, -1, s[2:3]
	v_cmp_le_u32_e64 s[2:3], s18, v10
	s_nop 1
	v_cndmask_b32_e64 v10, 0, -1, s[2:3]
	v_cmp_eq_u32_e64 s[2:3], s19, v5
	s_nop 1
	v_cndmask_b32_e64 v5, v11, v10, s[2:3]
	v_lshl_add_u64 v[10:11], v[8:9], 0, 2
	v_cmp_ne_u32_e64 s[2:3], 0, v5
	s_nop 1
	v_cndmask_b32_e64 v5, v13, v11, s[2:3]
	v_cndmask_b32_e64 v11, 0, -1, vcc
	v_cmp_le_u32_e32 vcc, s18, v14
	s_nop 1
	v_cndmask_b32_e64 v13, 0, -1, vcc
	v_cmp_eq_u32_e32 vcc, s19, v1
	s_nop 1
	v_cndmask_b32_e32 v1, v11, v13, vcc
	v_cmp_ne_u32_e32 vcc, 0, v1
	v_cndmask_b32_e64 v1, v12, v10, s[2:3]
	s_nop 0
	v_cndmask_b32_e32 v9, v9, v5, vcc
	v_cndmask_b32_e32 v8, v8, v1, vcc
.LBB0_4:                                ;   in Loop: Header=BB0_2 Depth=1
	s_andn2_saveexec_b64 s[2:3], s[20:21]
	s_cbranch_execz .LBB0_6
; %bb.5:                                ;   in Loop: Header=BB0_2 Depth=1
	v_cvt_f32_u32_e32 v1, s18
	s_sub_i32 s20, 0, s18
	v_rcp_iflag_f32_e32 v1, v1
	s_nop 0
	v_mul_f32_e32 v1, 0x4f7ffffe, v1
	v_cvt_u32_f32_e32 v1, v1
	v_mul_lo_u32 v5, s20, v1
	v_mul_hi_u32 v5, v1, v5
	v_add_u32_e32 v1, v1, v5
	v_mul_hi_u32 v1, v6, v1
	v_mul_lo_u32 v5, v1, s18
	v_sub_u32_e32 v5, v6, v5
	v_add_u32_e32 v8, 1, v1
	v_subrev_u32_e32 v9, s18, v5
	v_cmp_le_u32_e32 vcc, s18, v5
	s_nop 1
	v_cndmask_b32_e32 v5, v5, v9, vcc
	v_cndmask_b32_e32 v1, v1, v8, vcc
	v_add_u32_e32 v8, 1, v1
	v_cmp_le_u32_e32 vcc, s18, v5
	v_mov_b32_e32 v9, v4
	s_nop 0
	v_cndmask_b32_e32 v8, v1, v8, vcc
.LBB0_6:                                ;   in Loop: Header=BB0_2 Depth=1
	s_or_b64 exec, exec, s[2:3]
	v_mad_u64_u32 v[10:11], s[2:3], v8, s18, 0
	s_load_dwordx2 s[2:3], s[12:13], 0x0
	v_mul_lo_u32 v1, v9, s18
	v_mul_lo_u32 v5, v8, s19
	v_add3_u32 v1, v11, v5, v1
	v_sub_co_u32_e32 v5, vcc, v6, v10
	s_add_u32 s14, s14, 1
	s_nop 0
	v_subb_co_u32_e32 v1, vcc, v7, v1, vcc
	s_addc_u32 s15, s15, 0
	s_waitcnt lgkmcnt(0)
	v_mul_lo_u32 v1, s2, v1
	v_mul_lo_u32 v6, s3, v5
	v_mad_u64_u32 v[2:3], s[2:3], s2, v5, v[2:3]
	s_add_u32 s12, s12, 8
	v_add3_u32 v3, v6, v3, v1
	s_addc_u32 s13, s13, 0
	v_mov_b64_e32 v[6:7], s[6:7]
	s_add_u32 s16, s16, 8
	v_cmp_ge_u64_e32 vcc, s[14:15], v[6:7]
	s_addc_u32 s17, s17, 0
	s_cbranch_vccnz .LBB0_9
; %bb.7:                                ;   in Loop: Header=BB0_2 Depth=1
	v_mov_b64_e32 v[6:7], v[8:9]
	s_branch .LBB0_2
.LBB0_8:
	v_mov_b64_e32 v[8:9], v[6:7]
.LBB0_9:
	s_lshl_b64 s[2:3], s[6:7], 3
	s_add_u32 s2, s10, s2
	s_addc_u32 s3, s11, s3
	s_load_dwordx2 s[6:7], s[2:3], 0x0
	s_load_dwordx2 s[10:11], s[0:1], 0x20
	v_mov_b32_e32 v6, 0
                                        ; implicit-def: $vgpr10
                                        ; implicit-def: $vgpr35
                                        ; implicit-def: $vgpr13
                                        ; implicit-def: $vgpr30
                                        ; implicit-def: $vgpr15
                                        ; implicit-def: $vgpr22
                                        ; implicit-def: $vgpr16
                                        ; implicit-def: $vgpr33
                                        ; implicit-def: $vgpr12
                                        ; implicit-def: $vgpr26
                                        ; implicit-def: $vgpr14
                                        ; implicit-def: $vgpr20
                                        ; implicit-def: $vgpr24
                                        ; implicit-def: $vgpr37
                                        ; implicit-def: $vgpr19
	s_waitcnt lgkmcnt(0)
	v_mad_u64_u32 v[2:3], s[0:1], s6, v8, v[2:3]
	v_mul_lo_u32 v1, s6, v9
	v_mul_lo_u32 v4, s7, v8
	s_mov_b32 s0, 0x5555556
	v_add3_u32 v3, v4, v3, v1
	v_mul_hi_u32 v1, v0, s0
	v_mul_u32_u24_e32 v1, 48, v1
	v_cmp_gt_u64_e32 vcc, s[10:11], v[8:9]
	v_sub_u32_e32 v8, v0, v1
	v_mov_b32_e32 v0, 0
	v_lshl_add_u64 v[4:5], v[2:3], 3, s[8:9]
	v_mov_b32_e32 v1, v0
	v_mov_b32_e32 v2, v0
	;; [unrolled: 1-line block ×3, first 2 shown]
	s_and_saveexec_b64 s[2:3], vcc
	s_cbranch_execz .LBB0_13
; %bb.10:
	v_mov_b32_e32 v9, 0
	v_lshl_add_u64 v[6:7], v[8:9], 3, v[4:5]
	global_load_dwordx2 v[22:23], v[6:7], off
	global_load_dwordx2 v[24:25], v[6:7], off offset:2112
	global_load_dwordx2 v[18:19], v[6:7], off offset:1440
	;; [unrolled: 1-line block ×7, first 2 shown]
	v_cmp_gt_u32_e64 s[0:1], 36, v8
	v_mov_b32_e32 v2, v9
	v_mov_b32_e32 v1, v9
	;; [unrolled: 1-line block ×3, first 2 shown]
                                        ; implicit-def: $vgpr15
                                        ; implicit-def: $vgpr30
                                        ; implicit-def: $vgpr11
	s_and_saveexec_b64 s[6:7], s[0:1]
	s_cbranch_execz .LBB0_12
; %bb.11:
	global_load_dwordx2 v[2:3], v[6:7], off offset:768
	global_load_dwordx2 v[14:15], v[6:7], off offset:2880
	;; [unrolled: 1-line block ×4, first 2 shown]
	s_waitcnt vmcnt(3)
	v_mov_b32_e32 v9, v3
	s_waitcnt vmcnt(2)
	v_mov_b32_e32 v30, v14
.LBB0_12:
	s_or_b64 exec, exec, s[6:7]
	v_mov_b32_e32 v6, v8
	s_waitcnt vmcnt(2)
	v_mov_b32_e32 v35, v12
	v_mov_b32_e32 v3, v9
	;; [unrolled: 1-line block ×7, first 2 shown]
	s_waitcnt vmcnt(1)
	v_mov_b32_e32 v14, v27
	v_mov_b32_e32 v24, v21
	;; [unrolled: 1-line block ×3, first 2 shown]
	s_waitcnt vmcnt(0)
	v_mov_b32_e32 v21, v28
	v_mov_b32_e32 v25, v29
.LBB0_13:
	s_or_b64 exec, exec, s[2:3]
	v_mov_b32_e32 v31, 2.0
	v_pk_add_f32 v[42:43], v[2:3], v[30:31] op_sel_hi:[0,1] neg_lo:[0,1] neg_hi:[0,1]
	v_pk_mul_f32 v[38:39], v[2:3], v[30:31] op_sel_hi:[0,1]
	v_mov_b32_e32 v30, v31
	v_mov_b32_e32 v31, v42
	v_pk_add_f32 v[28:29], v[0:1], v[10:11] neg_lo:[0,1] neg_hi:[0,1]
	v_add_f32_e32 v10, v0, v0
	v_pk_add_f32 v[40:41], v[38:39], v[30:31] neg_lo:[0,1] neg_hi:[0,1]
	v_pk_add_f32 v[30:31], v[42:43], v[42:43]
	v_mov_b32_e32 v11, v42
	v_mov_b32_e32 v31, v41
	v_pk_add_f32 v[38:39], v[10:11], v[28:29] neg_lo:[0,1] neg_hi:[0,1]
	v_mov_b32_e32 v0, v23
	v_pk_add_f32 v[42:43], v[12:13], v[14:15] op_sel_hi:[1,0] neg_lo:[0,1] neg_hi:[0,1]
	v_add_f32_e32 v32, v12, v12
	v_pk_add_f32 v[10:11], v[30:31], v[38:39] op_sel:[0,1] op_sel_hi:[1,0] neg_lo:[0,1] neg_hi:[0,1]
	v_pk_add_f32 v[30:31], v[22:23], v[0:1] neg_lo:[0,1] neg_hi:[0,1]
	v_mov_b32_e32 v43, v26
	v_fma_f32 v22, v22, 2.0, -v30
	v_mov_b32_e32 v23, v30
	v_pk_add_f32 v[30:31], v[32:33], v[42:43] neg_lo:[0,1] neg_hi:[0,1]
	v_mov_b32_e32 v27, v42
	v_fma_f32 v26, v33, 2.0, -v31
	v_pk_add_f32 v[26:27], v[22:23], v[26:27] neg_lo:[0,1] neg_hi:[0,1]
	v_add_f32_e32 v36, v19, v19
	v_lshl_add_u32 v40, v8, 4, 0
	v_pk_fma_f32 v[22:23], v[22:23], 2.0, v[26:27] op_sel_hi:[1,0,1] neg_lo:[0,0,1] neg_hi:[0,0,1]
	v_mov_b32_e32 v0, v21
	v_sub_f32_e32 v34, v19, v13
	ds_write2_b64 v40, v[22:23], v[26:27] offset1:1
	v_pk_add_f32 v[22:23], v[20:21], v[0:1] neg_lo:[0,1] neg_hi:[0,1]
	v_pk_add_f32 v[32:33], v[36:37], v[34:35] neg_lo:[0,1] neg_hi:[0,1]
	v_fma_f32 v12, v20, 2.0, -v22
	v_mov_b32_e32 v13, v22
	v_fma_f32 v18, v37, 2.0, -v33
	v_mov_b32_e32 v19, v34
	v_add_u32_e32 v42, 48, v8
	v_pk_add_f32 v[18:19], v[12:13], v[18:19] neg_lo:[0,1] neg_hi:[0,1]
	v_lshl_add_u32 v44, v42, 4, 0
	v_pk_fma_f32 v[12:13], v[12:13], 2.0, v[18:19] op_sel_hi:[1,0,1] neg_lo:[0,0,1] neg_hi:[0,0,1]
	v_cmp_gt_u32_e64 s[0:1], 36, v8
	v_cmp_lt_u32_e64 s[2:3], 35, v8
	ds_write2_b64 v44, v[12:13], v[18:19] offset1:1
                                        ; implicit-def: $vgpr14
	s_and_saveexec_b64 s[6:7], s[2:3]
	s_xor_b64 s[6:7], exec, s[6:7]
; %bb.14:
	v_mov_b32_e32 v14, v39
                                        ; implicit-def: $vgpr38_vgpr39
; %bb.15:
	s_or_saveexec_b64 s[6:7], s[6:7]
	v_add_u32_e32 v43, 0x60, v8
	v_fma_f32 v7, v41, 2.0, -v11
	v_lshl_add_u32 v34, v43, 4, 0
	s_xor_b64 exec, exec, s[6:7]
	s_cbranch_execz .LBB0_17
; %bb.16:
	v_mov_b32_e32 v12, v7
	v_mov_b32_e32 v13, v10
	;; [unrolled: 1-line block ×4, first 2 shown]
	ds_write2_b64 v34, v[12:13], v[38:39] offset1:1
.LBB0_17:
	s_or_b64 exec, exec, s[6:7]
	v_mad_i32_i24 v0, v8, -12, v40
	s_waitcnt lgkmcnt(0)
	; wave barrier
	s_waitcnt lgkmcnt(0)
	ds_read2_b32 v[18:19], v0 offset1:48
	ds_read2_b32 v[22:23], v0 offset0:132 offset1:180
	v_add_u32_e32 v0, 0x400, v0
	ds_read2_b32 v[12:13], v0 offset0:8 offset1:56
	ds_read2_b32 v[20:21], v0 offset0:140 offset1:188
	v_mul_i32_i24_e32 v0, -12, v8
                                        ; implicit-def: $vgpr26_vgpr27
	s_and_saveexec_b64 s[6:7], s[2:3]
	s_xor_b64 s[6:7], exec, s[6:7]
; %bb.18:
	v_mov_b64_e32 v[26:27], v[10:11]
; %bb.19:
	s_or_saveexec_b64 s[6:7], s[6:7]
	v_add_u32_e32 v9, v40, v0
	s_xor_b64 exec, exec, s[6:7]
	s_cbranch_execz .LBB0_21
; %bb.20:
	v_add_u32_e32 v0, 0x400, v9
	ds_read2_b32 v[10:11], v9 offset0:96 offset1:228
	ds_read2_b32 v[36:37], v0 offset0:104 offset1:236
	s_waitcnt lgkmcnt(1)
	v_mov_b32_e32 v26, v11
	v_mov_b32_e32 v7, v10
	s_waitcnt lgkmcnt(0)
	v_mov_b32_e32 v27, v36
	v_mov_b32_e32 v14, v37
	v_mov_b32_e32 v10, v11
	v_mov_b32_e32 v11, v36
.LBB0_21:
	s_or_b64 exec, exec, s[6:7]
	v_mov_b32_e32 v0, v17
	v_pk_add_f32 v[36:37], v[16:17], v[0:1] neg_lo:[0,1] neg_hi:[0,1]
	v_mov_b32_e32 v0, v25
	v_fma_f32 v38, v16, 2.0, -v36
	v_pk_add_f32 v[16:17], v[24:25], v[0:1] neg_lo:[0,1] neg_hi:[0,1]
	v_mov_b32_e32 v39, v36
	v_fma_f32 v24, v24, 2.0, -v16
	v_mov_b32_e32 v25, v16
	v_mov_b32_e32 v17, 2.0
	v_mov_b32_e32 v16, v15
	v_pk_add_f32 v[46:47], v[2:3], v[16:17] op_sel:[1,0] neg_lo:[0,1] neg_hi:[0,1]
	v_pk_add_f32 v[36:37], v[2:3], v[2:3]
	v_add_f32_e32 v0, v1, v1
	v_mov_b32_e32 v2, v17
	v_mov_b32_e32 v3, v46
	;; [unrolled: 1-line block ×3, first 2 shown]
	v_pk_add_f32 v[2:3], v[36:37], v[2:3] neg_lo:[0,1] neg_hi:[0,1]
	v_pk_add_f32 v[16:17], v[46:47], v[46:47]
	v_pk_add_f32 v[36:37], v[0:1], v[28:29] op_sel:[0,1] op_sel_hi:[1,0] neg_lo:[0,1] neg_hi:[0,1]
	v_pk_add_f32 v[0:1], v[0:1], v[28:29] op_sel:[0,1] op_sel_hi:[1,0]
	v_mov_b32_e32 v17, v3
	v_mov_b32_e32 v28, v1
	;; [unrolled: 1-line block ×3, first 2 shown]
	v_pk_add_f32 v[16:17], v[16:17], v[28:29] neg_lo:[0,1] neg_hi:[0,1]
	v_pk_add_f32 v[28:29], v[38:39], v[30:31] neg_lo:[0,1] neg_hi:[0,1]
	v_pk_add_f32 v[30:31], v[38:39], v[30:31]
	s_waitcnt lgkmcnt(0)
	v_mov_b32_e32 v29, v31
	v_pk_fma_f32 v[36:37], v[38:39], 2.0, v[28:29] op_sel_hi:[1,0,1] neg_lo:[0,0,1] neg_hi:[0,0,1]
	v_pk_add_f32 v[38:39], v[24:25], v[32:33] neg_lo:[0,1] neg_hi:[0,1]
	v_pk_add_f32 v[32:33], v[24:25], v[32:33]
	; wave barrier
	s_nop 0
	v_mov_b32_e32 v39, v33
	v_pk_fma_f32 v[24:25], v[24:25], 2.0, v[38:39] op_sel_hi:[1,0,1] neg_lo:[0,0,1] neg_hi:[0,0,1]
	ds_write2_b64 v40, v[36:37], v[28:29] offset1:1
	ds_write2_b64 v44, v[24:25], v[38:39] offset1:1
                                        ; implicit-def: $vgpr32
	s_and_saveexec_b64 s[6:7], s[2:3]
	s_xor_b64 s[6:7], exec, s[6:7]
; %bb.22:
	v_mov_b32_e32 v32, v1
                                        ; implicit-def: $vgpr0_vgpr1
                                        ; implicit-def: $vgpr34
; %bb.23:
	s_or_saveexec_b64 s[6:7], s[6:7]
	v_fma_f32 v24, v3, 2.0, -v17
	s_xor_b64 exec, exec, s[6:7]
	s_cbranch_execz .LBB0_25
; %bb.24:
	v_mov_b32_e32 v25, v16
	v_mov_b32_e32 v0, v17
	;; [unrolled: 1-line block ×3, first 2 shown]
	ds_write2_b64 v34, v[24:25], v[0:1] offset1:1
.LBB0_25:
	s_or_b64 exec, exec, s[6:7]
	v_add_u32_e32 v0, 0x400, v9
	s_waitcnt lgkmcnt(0)
	; wave barrier
	s_waitcnt lgkmcnt(0)
	ds_read2_b32 v[28:29], v9 offset1:48
	ds_read2_b32 v[36:37], v9 offset0:132 offset1:180
	ds_read2_b32 v[30:31], v0 offset0:8 offset1:56
	;; [unrolled: 1-line block ×3, first 2 shown]
                                        ; implicit-def: $vgpr40_vgpr41
	s_and_saveexec_b64 s[6:7], s[2:3]
	s_xor_b64 s[6:7], exec, s[6:7]
; %bb.26:
	v_mov_b64_e32 v[40:41], v[16:17]
; %bb.27:
	s_or_saveexec_b64 s[6:7], s[6:7]
	v_lshlrev_b32_e32 v15, 2, v8
	v_lshlrev_b32_e32 v33, 2, v42
	s_xor_b64 exec, exec, s[6:7]
	s_cbranch_execz .LBB0_29
; %bb.28:
	v_add_u32_e32 v0, 0x400, v9
	ds_read2_b32 v[24:25], v9 offset0:96 offset1:228
	ds_read2_b32 v[0:1], v0 offset0:104 offset1:236
	s_waitcnt lgkmcnt(1)
	v_mov_b32_e32 v40, v25
	s_waitcnt lgkmcnt(0)
	v_mov_b32_e32 v41, v0
	v_mov_b32_e32 v17, v0
	;; [unrolled: 1-line block ×4, first 2 shown]
.LBB0_29:
	s_or_b64 exec, exec, s[6:7]
	v_and_b32_e32 v25, 3, v8
	v_mul_u32_u24_e32 v0, 3, v25
	v_lshlrev_b32_e32 v38, 3, v0
	global_load_dwordx4 v[0:3], v38, s[4:5]
	global_load_dwordx2 v[48:49], v38, s[4:5] offset:16
	s_movk_i32 s6, 0xf0
	s_movk_i32 s7, 0x1f0
	v_and_or_b32 v15, v15, s6, v25
	v_and_or_b32 v33, v33, s7, v25
	v_lshl_add_u32 v45, v15, 2, 0
	v_lshl_add_u32 v44, v33, 2, 0
	v_add_f32_e32 v50, v7, v7
	v_mov_b32_e32 v53, 2.0
	s_waitcnt lgkmcnt(0)
	; wave barrier
	s_waitcnt vmcnt(1) lgkmcnt(0)
	v_mul_f32_e32 v15, v36, v1
	v_mul_f32_e32 v47, v22, v1
	;; [unrolled: 1-line block ×7, first 2 shown]
	s_waitcnt vmcnt(0)
	v_mul_f32_e32 v10, v34, v49
	v_mul_f32_e32 v58, v20, v49
	;; [unrolled: 1-line block ×3, first 2 shown]
	v_mov_b32_e32 v56, v1
	v_mov_b32_e32 v57, v3
	v_pk_mul_f32 v[32:33], v[32:33], v[48:49] op_sel_hi:[0,1]
	v_mul_f32_e32 v60, v21, v49
	v_mov_b32_e32 v54, v0
	v_mov_b32_e32 v55, v2
	v_fma_f32 v22, v22, v0, -v15
	v_fmac_f32_e32 v47, v36, v0
	v_fma_f32 v36, v12, v2, -v38
	v_fma_f32 v23, v23, v0, -v51
	v_fmac_f32_e32 v46, v37, v0
	v_fma_f32 v37, v13, v2, -v52
	v_fmac_f32_e32 v39, v16, v0
	;; [unrolled: 2-line block ×3, first 2 shown]
	v_fma_f32 v34, v21, v48, -v59
	v_pk_mul_f32 v[0:1], v[40:41], v[56:57]
	v_pk_fma_f32 v[20:21], v[14:15], v[48:49], v[32:33] op_sel:[0,0,1] op_sel_hi:[0,1,0]
	v_pk_fma_f32 v[14:15], v[14:15], v[48:49], v[32:33] op_sel:[0,0,1] op_sel_hi:[0,1,0] neg_lo:[0,0,1] neg_hi:[0,0,1]
	v_sub_f32_e32 v20, v18, v36
	v_sub_f32_e32 v32, v19, v37
	v_pk_fma_f32 v[0:1], v[26:27], v[54:55], v[0:1] neg_lo:[0,0,1] neg_hi:[0,0,1]
	v_sub_f32_e32 v16, v22, v10
	v_sub_f32_e32 v10, v23, v34
	v_fmac_f32_e32 v60, v35, v48
	v_mov_b32_e32 v15, v21
	v_sub_f32_e32 v35, v47, v58
	v_fma_f32 v26, v18, 2.0, -v20
	v_fma_f32 v27, v19, 2.0, -v32
	;; [unrolled: 1-line block ×4, first 2 shown]
	v_pk_add_f32 v[18:19], v[6:7], v[0:1] neg_lo:[0,1] neg_hi:[0,1]
	v_sub_f32_e32 v34, v46, v60
	v_sub_f32_e32 v33, v20, v35
	v_mov_b32_e32 v38, v0
	v_pk_add_f32 v[0:1], v[0:1], v[0:1]
	v_sub_f32_e32 v7, v26, v21
	v_sub_f32_e32 v40, v27, v22
	v_mov_b32_e32 v52, v19
	v_pk_add_f32 v[22:23], v[18:19], v[18:19]
	v_mov_b32_e32 v51, v19
	v_sub_f32_e32 v36, v32, v34
	v_fma_f32 v37, v20, 2.0, -v33
	v_pk_add_f32 v[20:21], v[38:39], v[14:15] neg_lo:[0,1] neg_hi:[0,1]
	v_mov_b32_e32 v1, v19
	v_fma_f32 v22, v26, 2.0, -v7
	v_pk_add_f32 v[18:19], v[50:51], v[52:53] neg_lo:[0,1] neg_hi:[0,1]
	v_fma_f32 v32, v32, 2.0, -v36
	v_fma_f32 v26, v27, 2.0, -v40
	v_pk_add_f32 v[14:15], v[0:1], v[20:21] neg_lo:[0,1] neg_hi:[0,1]
	ds_write2_b32 v45, v7, v33 offset0:8 offset1:12
	ds_write2_b32 v45, v22, v37 offset1:4
	ds_write2_b32 v44, v26, v32 offset1:4
	v_mov_b32_e32 v22, v18
	v_pk_add_f32 v[0:1], v[22:23], v[14:15] neg_lo:[0,1] neg_hi:[0,1]
	ds_write2_b32 v44, v40, v36 offset0:8 offset1:12
	s_and_saveexec_b64 s[6:7], s[2:3]
	s_xor_b64 s[2:3], exec, s[6:7]
; %bb.30:
                                        ; implicit-def: $vgpr18_vgpr19
; %bb.31:
	s_or_saveexec_b64 s[2:3], s[2:3]
	v_lshlrev_b32_e32 v36, 2, v43
	s_xor_b64 exec, exec, s[2:3]
	s_cbranch_execz .LBB0_33
; %bb.32:
	s_movk_i32 s6, 0x3f0
	v_and_or_b32 v14, v36, s6, v25
	v_fma_f32 v7, v18, 2.0, -v0
	v_lshl_add_u32 v14, v14, 2, 0
	ds_write2_b32 v14, v7, v1 offset1:4
	ds_write2_b32 v14, v0, v15 offset0:8 offset1:12
.LBB0_33:
	s_or_b64 exec, exec, s[2:3]
	v_add_u32_e32 v7, 0x400, v9
	s_waitcnt lgkmcnt(0)
	; wave barrier
	s_waitcnt lgkmcnt(0)
	ds_read2_b32 v[18:19], v9 offset1:48
	ds_read2_b32 v[32:33], v9 offset0:176 offset1:224
	ds_read2_b32 v[26:27], v7 offset0:16 offset1:96
	;; [unrolled: 1-line block ×3, first 2 shown]
	v_lshl_add_u32 v7, v8, 2, 0
	ds_read_b32 v14, v7 offset:384
	v_cmp_gt_u32_e64 s[2:3], 32, v8
	s_and_saveexec_b64 s[6:7], s[2:3]
	s_cbranch_execz .LBB0_35
; %bb.34:
	v_add_u32_e32 v0, 0x200, v7
	ds_read2_b32 v[40:41], v0 offset0:16 offset1:192
	ds_read_b32 v15, v9 offset:1984
	s_waitcnt lgkmcnt(1)
	v_mov_b32_e32 v0, v41
	v_mov_b32_e32 v1, v40
.LBB0_35:
	s_or_b64 exec, exec, s[6:7]
	v_mul_f32_e32 v12, v12, v3
	v_fmac_f32_e32 v12, v30, v2
	v_mul_f32_e32 v13, v13, v3
	v_mul_f32_e32 v3, v11, v3
	v_fmac_f32_e32 v13, v31, v2
	v_fmac_f32_e32 v3, v17, v2
	v_sub_f32_e32 v2, v28, v12
	v_sub_f32_e32 v13, v29, v13
	v_add_f32_e32 v16, v2, v16
	v_fma_f32 v12, v28, 2.0, -v2
	v_fma_f32 v17, v29, 2.0, -v13
	v_sub_f32_e32 v29, v24, v3
	v_fma_f32 v3, v47, 2.0, -v35
	v_fma_f32 v30, v2, 2.0, -v16
	;; [unrolled: 1-line block ×4, first 2 shown]
	v_sub_f32_e32 v24, v12, v3
	v_sub_f32_e32 v31, v17, v2
	v_fma_f32 v2, v39, 2.0, -v21
	v_add_f32_e32 v28, v29, v20
	v_fma_f32 v12, v12, 2.0, -v24
	v_add_f32_e32 v10, v13, v10
	v_sub_f32_e32 v3, v11, v2
	v_fma_f32 v2, v29, 2.0, -v28
	v_fma_f32 v17, v17, 2.0, -v31
	;; [unrolled: 1-line block ×3, first 2 shown]
	s_waitcnt lgkmcnt(0)
	; wave barrier
	s_waitcnt lgkmcnt(0)
	ds_write2_b32 v45, v12, v30 offset1:4
	ds_write2_b32 v45, v24, v16 offset0:8 offset1:12
	ds_write2_b32 v44, v17, v13 offset1:4
	ds_write2_b32 v44, v31, v10 offset0:8 offset1:12
	s_and_saveexec_b64 s[6:7], s[0:1]
	s_cbranch_execz .LBB0_37
; %bb.36:
	s_movk_i32 s0, 0x3f0
	v_fma_f32 v10, v11, 2.0, -v3
	v_and_or_b32 v11, v36, s0, v25
	v_lshl_add_u32 v11, v11, 2, 0
	ds_write2_b32 v11, v10, v2 offset1:4
	ds_write2_b32 v11, v3, v28 offset0:8 offset1:12
.LBB0_37:
	s_or_b64 exec, exec, s[6:7]
	v_add_u32_e32 v10, 0x400, v9
	s_waitcnt lgkmcnt(0)
	; wave barrier
	s_waitcnt lgkmcnt(0)
	ds_read2_b32 v[20:21], v9 offset1:48
	ds_read2_b32 v[16:17], v9 offset0:176 offset1:224
	ds_read2_b32 v[12:13], v10 offset0:16 offset1:96
	;; [unrolled: 1-line block ×3, first 2 shown]
	ds_read_b32 v24, v7 offset:384
	s_and_saveexec_b64 s[0:1], s[2:3]
	s_cbranch_execz .LBB0_39
; %bb.38:
	v_add_u32_e32 v2, 0x200, v7
	ds_read2_b32 v[2:3], v2 offset0:16 offset1:192
	ds_read_b32 v28, v9 offset:1984
.LBB0_39:
	s_or_b64 exec, exec, s[0:1]
	v_and_b32_e32 v25, 15, v8
	v_lshlrev_b32_e32 v29, 4, v25
	global_load_dwordx4 v[44:47], v29, s[4:5] offset:96
	v_lshrrev_b32_e32 v29, 4, v8
	v_lshrrev_b32_e32 v31, 4, v43
	;; [unrolled: 1-line block ×3, first 2 shown]
	v_mul_u32_u24_e32 v29, 48, v29
	v_mul_u32_u24_e32 v31, 48, v31
	v_or_b32_e32 v29, v29, v25
	v_or_b32_e32 v34, v31, v25
	v_lshl_add_u32 v31, v29, 2, 0
	v_lshl_add_u32 v29, v34, 2, 0
	v_mul_u32_u24_e32 v30, 48, v30
	v_add_u32_e32 v48, 0x90, v8
	v_or_b32_e32 v30, v30, v25
	s_waitcnt lgkmcnt(0)
	; wave barrier
	s_waitcnt lgkmcnt(0)
	v_lshl_add_u32 v30, v30, 2, 0
	s_waitcnt vmcnt(0)
	v_mul_f32_e32 v42, v16, v45
	v_mul_f32_e32 v40, v32, v45
	;; [unrolled: 1-line block ×12, first 2 shown]
	v_fma_f32 v32, v32, v44, -v42
	v_fmac_f32_e32 v40, v16, v44
	v_fma_f32 v27, v27, v46, -v43
	v_fmac_f32_e32 v41, v13, v46
	v_fma_f32 v13, v33, v44, -v49
	v_fma_f32 v16, v22, v46, -v50
	v_mul_f32_e32 v53, v3, v45
	v_mul_f32_e32 v34, v0, v45
	;; [unrolled: 1-line block ×3, first 2 shown]
	v_fmac_f32_e32 v38, v17, v44
	v_fmac_f32_e32 v39, v10, v46
	v_fma_f32 v10, v26, v44, -v51
	v_fmac_f32_e32 v36, v12, v44
	v_fma_f32 v12, v23, v46, -v52
	v_fmac_f32_e32 v37, v11, v46
	v_add_f32_e32 v11, v32, v27
	v_add_f32_e32 v23, v13, v16
	v_mul_f32_e32 v35, v15, v47
	v_fma_f32 v22, v0, v44, -v53
	v_fmac_f32_e32 v34, v3, v44
	v_fma_f32 v3, v15, v46, -v45
	v_add_f32_e32 v0, v18, v32
	v_sub_f32_e32 v15, v40, v41
	v_add_f32_e32 v17, v19, v13
	v_sub_f32_e32 v26, v38, v39
	v_add_f32_e32 v33, v10, v12
	v_fma_f32 v11, -0.5, v11, v18
	v_fmac_f32_e32 v19, -0.5, v23
	v_fmac_f32_e32 v35, v28, v46
	v_add_f32_e32 v28, v14, v10
	v_sub_f32_e32 v42, v36, v37
	v_add_f32_e32 v0, v0, v27
	v_fmac_f32_e32 v14, -0.5, v33
	v_fmamk_f32 v23, v15, 0x3f5db3d7, v11
	v_fmac_f32_e32 v11, 0xbf5db3d7, v15
	v_fmamk_f32 v15, v26, 0x3f5db3d7, v19
	v_fmac_f32_e32 v19, 0xbf5db3d7, v26
	v_add_f32_e32 v17, v17, v16
	v_add_f32_e32 v18, v28, v12
	v_fmamk_f32 v26, v42, 0x3f5db3d7, v14
	v_fmac_f32_e32 v14, 0xbf5db3d7, v42
	ds_write2_b32 v31, v0, v23 offset1:16
	ds_write_b32 v31, v11 offset:128
	ds_write2_b32 v30, v17, v15 offset1:16
	ds_write_b32 v30, v19 offset:128
	;; [unrolled: 2-line block ×3, first 2 shown]
	v_lshrrev_b32_e32 v19, 4, v48
	s_and_saveexec_b64 s[0:1], s[2:3]
	s_cbranch_execz .LBB0_41
; %bb.40:
	v_mul_u32_u24_e32 v0, 48, v19
	v_add_f32_e32 v11, v22, v3
	v_or_b32_e32 v0, v0, v25
	v_fma_f32 v11, -0.5, v11, v1
	v_sub_f32_e32 v14, v34, v35
	v_add_f32_e32 v1, v1, v22
	v_lshl_add_u32 v0, v0, 2, 0
	v_fmamk_f32 v15, v14, 0xbf5db3d7, v11
	v_fmac_f32_e32 v11, 0x3f5db3d7, v14
	v_add_f32_e32 v1, v1, v3
	ds_write2_b32 v0, v1, v11 offset1:16
	ds_write_b32 v0, v15 offset:128
.LBB0_41:
	s_or_b64 exec, exec, s[0:1]
	v_add_f32_e32 v0, v20, v40
	v_add_f32_e32 v23, v0, v41
	;; [unrolled: 1-line block ×3, first 2 shown]
	v_fma_f32 v20, -0.5, v0, v20
	v_sub_f32_e32 v0, v32, v27
	v_fmamk_f32 v26, v0, 0xbf5db3d7, v20
	v_fmac_f32_e32 v20, 0x3f5db3d7, v0
	v_add_f32_e32 v0, v21, v38
	v_add_f32_e32 v27, v0, v39
	;; [unrolled: 1-line block ×3, first 2 shown]
	v_fmac_f32_e32 v21, -0.5, v0
	v_sub_f32_e32 v0, v13, v16
	v_fmamk_f32 v28, v0, 0xbf5db3d7, v21
	v_fmac_f32_e32 v21, 0x3f5db3d7, v0
	v_add_f32_e32 v0, v24, v36
	v_add_f32_e32 v32, v0, v37
	;; [unrolled: 1-line block ×3, first 2 shown]
	v_fmac_f32_e32 v24, -0.5, v0
	v_sub_f32_e32 v0, v10, v12
	v_add_u32_e32 v16, 0x400, v9
	v_fmamk_f32 v33, v0, 0xbf5db3d7, v24
	v_fmac_f32_e32 v24, 0x3f5db3d7, v0
	s_waitcnt lgkmcnt(0)
	; wave barrier
	s_waitcnt lgkmcnt(0)
	ds_read2_b32 v[0:1], v9 offset1:48
	ds_read2_b32 v[14:15], v7 offset0:96 offset1:144
	ds_read2_b32 v[10:11], v9 offset0:192 offset1:240
	;; [unrolled: 1-line block ×4, first 2 shown]
	ds_read_b32 v18, v9 offset:1920
	s_waitcnt lgkmcnt(0)
	; wave barrier
	s_waitcnt lgkmcnt(0)
	ds_write2_b32 v31, v23, v26 offset1:16
	ds_write_b32 v31, v20 offset:128
	ds_write2_b32 v30, v27, v28 offset1:16
	ds_write_b32 v30, v21 offset:128
	;; [unrolled: 2-line block ×3, first 2 shown]
	s_and_saveexec_b64 s[0:1], s[2:3]
	s_cbranch_execz .LBB0_43
; %bb.42:
	v_add_f32_e32 v21, v34, v35
	v_add_f32_e32 v20, v2, v34
	v_fmac_f32_e32 v2, -0.5, v21
	v_sub_f32_e32 v3, v22, v3
	v_fmamk_f32 v21, v3, 0xbf5db3d7, v2
	v_fmamk_f32 v2, v3, 0x3f5db3d7, v2
	v_mul_u32_u24_e32 v3, 48, v19
	v_or_b32_e32 v3, v3, v25
	v_add_f32_e32 v20, v20, v35
	v_lshl_add_u32 v3, v3, 2, 0
	ds_write2_b32 v3, v20, v21 offset1:16
	ds_write_b32 v3, v2 offset:128
.LBB0_43:
	s_or_b64 exec, exec, s[0:1]
	s_waitcnt lgkmcnt(0)
	; wave barrier
	s_waitcnt lgkmcnt(0)
	s_and_saveexec_b64 s[0:1], vcc
	s_cbranch_execz .LBB0_45
; %bb.44:
	v_mul_u32_u24_e32 v2, 10, v8
	v_lshlrev_b32_e32 v2, 3, v2
	global_load_dwordx4 v[20:23], v2, s[4:5] offset:416
	global_load_dwordx4 v[24:27], v2, s[4:5] offset:352
	;; [unrolled: 1-line block ×5, first 2 shown]
	v_add_u32_e32 v2, 0x400, v9
	ds_read_b32 v8, v9 offset:1920
	ds_read2_b32 v[40:41], v9 offset1:48
	ds_read2_b32 v[42:43], v7 offset0:96 offset1:144
	ds_read2_b32 v[44:45], v9 offset0:192 offset1:240
	;; [unrolled: 1-line block ×4, first 2 shown]
	v_mov_b32_e32 v7, 0
	v_lshl_add_u64 v[2:3], v[6:7], 3, v[4:5]
	s_waitcnt lgkmcnt(3)
	v_mov_b32_e32 v4, v43
	s_waitcnt lgkmcnt(1)
	v_mov_b32_e32 v66, v63
	v_mov_b32_e32 v46, v17
	;; [unrolled: 1-line block ×10, first 2 shown]
	s_waitcnt lgkmcnt(0)
	v_mov_b32_e32 v68, v65
	s_mov_b32 s20, 0x3f575c64
	s_mov_b32 s21, 0xbf0a6770
	;; [unrolled: 1-line block ×32, first 2 shown]
	s_waitcnt vmcnt(4)
	v_mov_b32_e32 v70, v23
	v_mov_b32_e32 v71, v22
	s_waitcnt vmcnt(3)
	v_mov_b32_e32 v72, v27
	v_mov_b32_e32 v73, v26
	v_pk_mul_f32 v[66:67], v[66:67], v[20:21] op_sel:[0,1] op_sel_hi:[0,0]
	s_waitcnt vmcnt(2)
	v_pk_mul_f32 v[4:5], v[4:5], v[28:29] op_sel:[0,1] op_sel_hi:[0,0]
	v_mul_f32_e32 v47, v1, v25
	v_mul_f32_e32 v13, v41, v25
	v_pk_mul_f32 v[8:9], v[8:9], v[70:71] op_sel_hi:[0,1]
	v_pk_mul_f32 v[42:43], v[42:43], v[72:73] op_sel_hi:[0,1]
	s_waitcnt vmcnt(1)
	v_mov_b32_e32 v74, v35
	v_mov_b32_e32 v75, v34
	;; [unrolled: 1-line block ×4, first 2 shown]
	v_pk_fma_f32 v[70:71], v[46:47], v[20:21], v[66:67] neg_lo:[0,0,1] neg_hi:[0,0,1]
	v_pk_fma_f32 v[20:21], v[48:49], v[20:21], v[66:67] op_sel_hi:[0,1,1]
	v_pk_fma_f32 v[48:49], v[50:51], v[28:29], v[4:5] neg_lo:[0,0,1] neg_hi:[0,0,1]
	v_pk_fma_f32 v[4:5], v[52:53], v[28:29], v[4:5] op_sel_hi:[0,1,1]
	v_fmac_f32_e32 v47, v41, v24
	v_fma_f32 v46, v1, v24, -v13
	v_pk_fma_f32 v[52:53], v[18:19], v[22:23], v[8:9] op_sel_hi:[0,1,1] neg_lo:[0,0,1] neg_hi:[0,0,1]
	v_pk_fma_f32 v[18:19], v[18:19], v[22:23], v[8:9] op_sel_hi:[0,1,1]
	v_pk_fma_f32 v[22:23], v[14:15], v[26:27], v[42:43] neg_lo:[0,0,1] neg_hi:[0,0,1]
	v_pk_fma_f32 v[14:15], v[14:15], v[26:27], v[42:43] op_sel_hi:[0,1,1]
	v_mov_b32_e32 v1, v40
	v_pk_mul_f32 v[28:29], v[62:63], v[74:75] op_sel_hi:[0,1]
	v_pk_mul_f32 v[44:45], v[44:45], v[76:77] op_sel_hi:[0,1]
	v_mov_b32_e32 v23, v15
	v_pk_add_f32 v[14:15], v[0:1], v[46:47]
	s_waitcnt vmcnt(0)
	v_pk_mul_f32 v[6:7], v[6:7], v[36:37] op_sel:[0,1] op_sel_hi:[0,0]
	v_mov_b32_e32 v78, v39
	v_mov_b32_e32 v79, v38
	;; [unrolled: 1-line block ×4, first 2 shown]
	v_pk_fma_f32 v[20:21], v[16:17], v[34:35], v[28:29] neg_lo:[0,0,1] neg_hi:[0,0,1]
	v_pk_fma_f32 v[4:5], v[16:17], v[34:35], v[28:29] op_sel_hi:[0,1,1]
	v_pk_fma_f32 v[16:17], v[10:11], v[30:31], v[44:45] neg_lo:[0,0,1] neg_hi:[0,0,1]
	v_pk_fma_f32 v[10:11], v[10:11], v[30:31], v[44:45] op_sel_hi:[0,1,1]
	v_pk_add_f32 v[14:15], v[14:15], v[22:23]
	v_pk_fma_f32 v[24:25], v[58:59], v[36:37], v[6:7] neg_lo:[0,0,1] neg_hi:[0,0,1]
	v_pk_fma_f32 v[6:7], v[60:61], v[36:37], v[6:7] op_sel_hi:[0,1,1]
	v_pk_mul_f32 v[36:37], v[64:65], v[78:79] op_sel_hi:[0,1]
	v_mov_b32_e32 v17, v11
	v_pk_add_f32 v[14:15], v[14:15], v[48:49]
	v_pk_mul_f32 v[68:69], v[68:69], v[32:33] op_sel:[0,1] op_sel_hi:[0,0]
	v_mov_b32_e32 v25, v7
	v_pk_fma_f32 v[26:27], v[12:13], v[38:39], v[36:37] neg_lo:[0,0,1] neg_hi:[0,0,1]
	v_pk_fma_f32 v[6:7], v[12:13], v[38:39], v[36:37] op_sel_hi:[0,1,1]
	v_pk_add_f32 v[14:15], v[14:15], v[16:17]
	v_pk_fma_f32 v[50:51], v[54:55], v[32:33], v[68:69] neg_lo:[0,0,1] neg_hi:[0,0,1]
	v_pk_fma_f32 v[32:33], v[56:57], v[32:33], v[68:69] op_sel_hi:[0,1,1]
	v_mov_b32_e32 v27, v7
	v_pk_add_f32 v[14:15], v[14:15], v[24:25]
	v_mov_b32_e32 v51, v33
	v_pk_add_f32 v[14:15], v[26:27], v[14:15]
	;; [unrolled: 2-line block ×4, first 2 shown]
	v_sub_f32_e32 v35, v46, v52
	v_pk_add_f32 v[14:15], v[70:71], v[14:15]
	v_add_f32_e32 v34, v52, v46
	v_pk_add_f32 v[14:15], v[52:53], v[14:15]
	v_add_f32_e32 v9, v19, v47
	v_pk_add_f32 v[12:13], v[70:71], v[22:23]
	v_pk_add_f32 v[28:29], v[22:23], v[70:71] neg_lo:[0,1] neg_hi:[0,1]
	v_sub_f32_e32 v8, v47, v19
	global_store_dwordx2 v[2:3], v[14:15], off
	v_pk_mul_f32 v[14:15], v[34:35], s[20:21]
	v_pk_add_f32 v[4:5], v[26:27], v[24:25]
	v_pk_add_f32 v[36:37], v[24:25], v[26:27] neg_lo:[0,1] neg_hi:[0,1]
	v_mov_b32_e32 v38, v12
	v_mov_b32_e32 v39, v28
	v_pk_fma_f32 v[26:27], v[8:9], s[0:1], v[14:15] neg_lo:[1,0,0] neg_hi:[1,0,0]
	v_pk_fma_f32 v[24:25], v[8:9], s[0:1], v[14:15]
	v_pk_add_f32 v[10:11], v[20:21], v[48:49]
	v_pk_add_f32 v[30:31], v[48:49], v[20:21] neg_lo:[0,1] neg_hi:[0,1]
	v_pk_add_f32 v[6:7], v[50:51], v[16:17]
	v_pk_add_f32 v[32:33], v[16:17], v[50:51] neg_lo:[0,1] neg_hi:[0,1]
	v_pk_mul_f32 v[16:17], v[38:39], s[12:13]
	v_mov_b32_e32 v12, v29
	v_mov_b32_e32 v27, v25
	v_mov_b32_e32 v40, v10
	v_mov_b32_e32 v41, v30
	v_mov_b32_e32 v10, v31
	v_pk_add_f32 v[28:29], v[0:1], v[26:27]
	v_pk_fma_f32 v[30:31], v[12:13], s[2:3], v[16:17] neg_lo:[1,0,0] neg_hi:[1,0,0]
	v_pk_fma_f32 v[26:27], v[12:13], s[2:3], v[16:17]
	v_pk_mul_f32 v[18:19], v[40:41], s[14:15]
	v_mov_b32_e32 v31, v27
	v_mov_b32_e32 v42, v6
	;; [unrolled: 1-line block ×4, first 2 shown]
	v_pk_add_f32 v[30:31], v[28:29], v[30:31]
	v_pk_fma_f32 v[32:33], v[10:11], s[4:5], v[18:19] neg_lo:[1,0,0] neg_hi:[1,0,0]
	v_pk_fma_f32 v[28:29], v[10:11], s[4:5], v[18:19]
	v_pk_mul_f32 v[20:21], v[42:43], s[22:23]
	v_mov_b32_e32 v33, v29
	v_mov_b32_e32 v44, v4
	;; [unrolled: 1-line block ×4, first 2 shown]
	v_pk_add_f32 v[32:33], v[30:31], v[32:33]
	v_pk_fma_f32 v[36:37], v[6:7], s[6:7], v[20:21] neg_lo:[1,0,0] neg_hi:[1,0,0]
	v_pk_fma_f32 v[30:31], v[6:7], s[6:7], v[20:21]
	v_pk_mul_f32 v[22:23], v[44:45], s[24:25]
	v_mov_b32_e32 v37, v31
	v_pk_add_f32 v[36:37], v[32:33], v[36:37]
	v_pk_fma_f32 v[46:47], v[4:5], s[8:9], v[22:23] neg_lo:[1,0,0] neg_hi:[1,0,0]
	v_pk_fma_f32 v[32:33], v[4:5], s[8:9], v[22:23]
	v_pk_mul_f32 v[48:49], v[40:41], s[26:27]
	v_mov_b32_e32 v47, v33
	v_pk_add_f32 v[36:37], v[36:37], v[46:47]
	global_store_dwordx2 v[2:3], v[36:37], off offset:384
	v_pk_mul_f32 v[36:37], v[34:35], s[12:13]
	v_pk_mul_f32 v[46:47], v[38:39], s[22:23]
	v_pk_fma_f32 v[50:51], v[8:9], s[2:3], v[36:37] neg_lo:[1,0,0] neg_hi:[1,0,0]
	v_pk_fma_f32 v[52:53], v[8:9], s[2:3], v[36:37]
	v_pk_fma_f32 v[54:55], v[12:13], s[6:7], v[46:47] neg_lo:[1,0,0] neg_hi:[1,0,0]
	v_mov_b32_e32 v51, v53
	v_pk_fma_f32 v[56:57], v[12:13], s[6:7], v[46:47]
	v_pk_add_f32 v[50:51], v[0:1], v[50:51]
	v_mov_b32_e32 v55, v57
	v_pk_add_f32 v[50:51], v[50:51], v[54:55]
	v_pk_fma_f32 v[54:55], v[10:11], s[10:11], v[48:49] neg_lo:[1,0,0] neg_hi:[1,0,0]
	v_pk_fma_f32 v[58:59], v[10:11], s[10:11], v[48:49]
	v_pk_mul_f32 v[70:71], v[38:39], s[26:27]
	v_mov_b32_e32 v55, v59
	v_pk_add_f32 v[50:51], v[50:51], v[54:55]
	v_pk_mul_f32 v[54:55], v[42:43], s[28:29]
	v_pk_fma_f32 v[72:73], v[12:13], s[10:11], v[70:71] neg_lo:[1,0,0] neg_hi:[1,0,0]
	v_pk_fma_f32 v[60:61], v[6:7], s[16:17], v[54:55] neg_lo:[1,0,0] neg_hi:[1,0,0]
	v_pk_fma_f32 v[62:63], v[6:7], s[16:17], v[54:55]
	v_pk_fma_f32 v[74:75], v[12:13], s[10:11], v[70:71]
	v_mov_b32_e32 v61, v63
	v_pk_add_f32 v[50:51], v[50:51], v[60:61]
	v_pk_mul_f32 v[60:61], v[44:45], s[30:31]
	v_mov_b32_e32 v73, v75
	v_pk_fma_f32 v[64:65], v[4:5], s[18:19], v[60:61] neg_lo:[1,0,0] neg_hi:[1,0,0]
	v_pk_fma_f32 v[66:67], v[4:5], s[18:19], v[60:61]
	s_mov_b32 s13, 0x3f68dda4
	v_mov_b32_e32 v65, v67
	v_pk_add_f32 v[50:51], v[50:51], v[64:65]
	global_store_dwordx2 v[2:3], v[50:51], off offset:768
	v_pk_mul_f32 v[50:51], v[34:35], s[14:15]
	s_mov_b32 s26, s13
	v_pk_fma_f32 v[64:65], v[8:9], s[4:5], v[50:51] neg_lo:[1,0,0] neg_hi:[1,0,0]
	v_pk_fma_f32 v[68:69], v[8:9], s[4:5], v[50:51]
	s_mov_b32 s27, s12
	v_mov_b32_e32 v65, v69
	v_pk_add_f32 v[64:65], v[0:1], v[64:65]
	v_pk_mul_f32 v[90:91], v[38:39], s[28:29]
	v_pk_add_f32 v[64:65], v[64:65], v[72:73]
	v_pk_mul_f32 v[72:73], v[40:41], s[12:13]
	v_pk_fma_f32 v[92:93], v[12:13], s[16:17], v[90:91] neg_lo:[1,0,0] neg_hi:[1,0,0]
	v_pk_fma_f32 v[76:77], v[10:11], s[26:27], v[72:73] neg_lo:[1,0,0] neg_hi:[1,0,0]
	v_pk_fma_f32 v[78:79], v[10:11], s[26:27], v[72:73]
	v_pk_fma_f32 v[94:95], v[12:13], s[16:17], v[90:91]
	v_mov_b32_e32 v77, v79
	v_pk_add_f32 v[64:65], v[64:65], v[76:77]
	v_pk_mul_f32 v[76:77], v[42:43], s[20:21]
	v_mov_b32_e32 v93, v95
	v_pk_fma_f32 v[80:81], v[6:7], s[0:1], v[76:77] neg_lo:[1,0,0] neg_hi:[1,0,0]
	v_pk_fma_f32 v[82:83], v[6:7], s[0:1], v[76:77]
	v_pk_mul_f32 v[38:39], v[38:39], s[30:31]
	v_mov_b32_e32 v81, v83
	v_pk_add_f32 v[64:65], v[64:65], v[80:81]
	v_pk_mul_f32 v[80:81], v[44:45], s[22:23]
	v_pk_fma_f32 v[108:109], v[12:13], s[18:19], v[38:39] neg_lo:[1,0,0] neg_hi:[1,0,0]
	v_pk_fma_f32 v[84:85], v[4:5], s[6:7], v[80:81] neg_lo:[1,0,0] neg_hi:[1,0,0]
	v_pk_fma_f32 v[86:87], v[4:5], s[6:7], v[80:81]
	v_pk_fma_f32 v[110:111], v[12:13], s[18:19], v[38:39]
	v_mov_b32_e32 v85, v87
	v_pk_add_f32 v[64:65], v[64:65], v[84:85]
	global_store_dwordx2 v[2:3], v[64:65], off offset:1152
	v_pk_mul_f32 v[64:65], v[34:35], s[22:23]
	v_pk_mul_f32 v[34:35], v[34:35], s[24:25]
	v_pk_fma_f32 v[84:85], v[8:9], s[6:7], v[64:65] neg_lo:[1,0,0] neg_hi:[1,0,0]
	v_pk_fma_f32 v[88:89], v[8:9], s[6:7], v[64:65]
	v_mov_b32_e32 v109, v111
	v_mov_b32_e32 v85, v89
	v_pk_add_f32 v[84:85], v[0:1], v[84:85]
	s_nop 0
	v_pk_add_f32 v[84:85], v[84:85], v[92:93]
	v_pk_mul_f32 v[92:93], v[40:41], s[20:21]
	v_pk_mul_f32 v[40:41], v[40:41], s[22:23]
	v_pk_fma_f32 v[96:97], v[10:11], s[0:1], v[92:93] neg_lo:[1,0,0] neg_hi:[1,0,0]
	v_pk_fma_f32 v[98:99], v[10:11], s[0:1], v[92:93]
	v_pk_fma_f32 v[112:113], v[10:11], s[6:7], v[40:41]
	v_mov_b32_e32 v97, v99
	v_pk_add_f32 v[84:85], v[84:85], v[96:97]
	v_pk_mul_f32 v[96:97], v[42:43], s[24:25]
	v_pk_mul_f32 v[42:43], v[42:43], s[12:13]
	v_pk_fma_f32 v[100:101], v[6:7], s[8:9], v[96:97] neg_lo:[1,0,0] neg_hi:[1,0,0]
	v_pk_fma_f32 v[102:103], v[6:7], s[8:9], v[96:97]
	v_pk_fma_f32 v[114:115], v[6:7], s[26:27], v[42:43]
	v_mov_b32_e32 v101, v103
	;; [unrolled: 7-line block ×3, first 2 shown]
	v_pk_add_f32 v[84:85], v[84:85], v[104:105]
	global_store_dwordx2 v[2:3], v[84:85], off offset:1536
	v_pk_fma_f32 v[84:85], v[8:9], s[8:9], v[34:35] neg_lo:[1,0,0] neg_hi:[1,0,0]
	v_pk_fma_f32 v[104:105], v[8:9], s[8:9], v[34:35]
	v_pk_fma_f32 v[34:35], v[8:9], s[8:9], v[34:35] neg_lo:[0,0,1] neg_hi:[0,0,1]
	v_mov_b32_e32 v85, v105
	v_pk_add_f32 v[84:85], v[0:1], v[84:85]
	v_mov_b32_e32 v105, v35
	v_pk_add_f32 v[84:85], v[84:85], v[108:109]
	v_pk_fma_f32 v[108:109], v[10:11], s[6:7], v[40:41] neg_lo:[1,0,0] neg_hi:[1,0,0]
	v_pk_fma_f32 v[34:35], v[12:13], s[18:19], v[38:39] neg_lo:[0,0,1] neg_hi:[0,0,1]
	v_mov_b32_e32 v109, v113
	v_pk_add_f32 v[84:85], v[84:85], v[108:109]
	v_pk_fma_f32 v[108:109], v[6:7], s[26:27], v[42:43] neg_lo:[1,0,0] neg_hi:[1,0,0]
	v_mov_b32_e32 v111, v35
	v_pk_add_f32 v[34:35], v[0:1], v[104:105]
	;; [unrolled: 3-line block ×3, first 2 shown]
	v_mov_b32_e32 v113, v39
	v_pk_fma_f32 v[38:39], v[6:7], s[26:27], v[42:43] neg_lo:[0,0,1] neg_hi:[0,0,1]
	v_pk_add_f32 v[84:85], v[84:85], v[108:109]
	v_pk_fma_f32 v[108:109], v[4:5], s[4:5], v[44:45] neg_lo:[1,0,0] neg_hi:[1,0,0]
	v_pk_add_f32 v[34:35], v[34:35], v[112:113]
	v_mov_b32_e32 v115, v39
	v_pk_fma_f32 v[38:39], v[4:5], s[4:5], v[44:45] neg_lo:[0,0,1] neg_hi:[0,0,1]
	v_mov_b32_e32 v109, v117
	v_pk_add_f32 v[34:35], v[34:35], v[114:115]
	v_mov_b32_e32 v117, v39
	v_pk_add_f32 v[34:35], v[34:35], v[116:117]
	global_store_dwordx2 v[2:3], v[34:35], off offset:2304
	v_pk_fma_f32 v[34:35], v[8:9], s[6:7], v[64:65] neg_lo:[0,0,1] neg_hi:[0,0,1]
	v_pk_fma_f32 v[38:39], v[10:11], s[0:1], v[92:93] neg_lo:[0,0,1] neg_hi:[0,0,1]
	v_mov_b32_e32 v89, v35
	v_pk_fma_f32 v[34:35], v[12:13], s[16:17], v[90:91] neg_lo:[0,0,1] neg_hi:[0,0,1]
	v_mov_b32_e32 v99, v39
	v_mov_b32_e32 v95, v35
	v_pk_add_f32 v[34:35], v[0:1], v[88:89]
	v_pk_fma_f32 v[38:39], v[6:7], s[8:9], v[96:97] neg_lo:[0,0,1] neg_hi:[0,0,1]
	v_pk_add_f32 v[34:35], v[34:35], v[94:95]
	v_mov_b32_e32 v103, v39
	v_pk_add_f32 v[34:35], v[34:35], v[98:99]
	v_pk_fma_f32 v[38:39], v[4:5], s[26:27], v[100:101] neg_lo:[0,0,1] neg_hi:[0,0,1]
	v_pk_add_f32 v[34:35], v[34:35], v[102:103]
	v_mov_b32_e32 v107, v39
	v_pk_add_f32 v[34:35], v[34:35], v[106:107]
	global_store_dwordx2 v[2:3], v[34:35], off offset:2688
	v_pk_fma_f32 v[34:35], v[8:9], s[4:5], v[50:51] neg_lo:[0,0,1] neg_hi:[0,0,1]
	v_pk_fma_f32 v[38:39], v[10:11], s[26:27], v[72:73] neg_lo:[0,0,1] neg_hi:[0,0,1]
	v_mov_b32_e32 v69, v35
	v_pk_fma_f32 v[34:35], v[12:13], s[10:11], v[70:71] neg_lo:[0,0,1] neg_hi:[0,0,1]
	v_mov_b32_e32 v79, v39
	v_mov_b32_e32 v75, v35
	v_pk_add_f32 v[34:35], v[0:1], v[68:69]
	v_pk_fma_f32 v[38:39], v[6:7], s[0:1], v[76:77] neg_lo:[0,0,1] neg_hi:[0,0,1]
	v_pk_add_f32 v[34:35], v[34:35], v[74:75]
	v_mov_b32_e32 v83, v39
	v_pk_add_f32 v[34:35], v[34:35], v[78:79]
	v_pk_fma_f32 v[38:39], v[4:5], s[6:7], v[80:81] neg_lo:[0,0,1] neg_hi:[0,0,1]
	v_pk_add_f32 v[34:35], v[34:35], v[82:83]
	v_mov_b32_e32 v87, v39
	v_pk_add_f32 v[34:35], v[34:35], v[86:87]
	global_store_dwordx2 v[2:3], v[34:35], off offset:3072
	v_pk_fma_f32 v[34:35], v[8:9], s[2:3], v[36:37] neg_lo:[0,0,1] neg_hi:[0,0,1]
	v_pk_fma_f32 v[8:9], v[8:9], s[0:1], v[14:15] neg_lo:[0,0,1] neg_hi:[0,0,1]
	v_mov_b32_e32 v53, v35
	v_pk_fma_f32 v[36:37], v[12:13], s[6:7], v[46:47] neg_lo:[0,0,1] neg_hi:[0,0,1]
	v_mov_b32_e32 v25, v9
	v_pk_fma_f32 v[8:9], v[12:13], s[2:3], v[16:17] neg_lo:[0,0,1] neg_hi:[0,0,1]
	v_pk_add_f32 v[34:35], v[0:1], v[52:53]
	v_mov_b32_e32 v57, v37
	v_pk_fma_f32 v[36:37], v[10:11], s[10:11], v[48:49] neg_lo:[0,0,1] neg_hi:[0,0,1]
	v_pk_add_f32 v[0:1], v[0:1], v[24:25]
	;; [unrolled: 3-line block ×7, first 2 shown]
	v_mov_b32_e32 v67, v37
	v_pk_add_f32 v[0:1], v[0:1], v[30:31]
	v_mov_b32_e32 v33, v5
	v_pk_add_f32 v[84:85], v[84:85], v[108:109]
	v_pk_add_f32 v[34:35], v[34:35], v[66:67]
	;; [unrolled: 1-line block ×3, first 2 shown]
	global_store_dwordx2 v[2:3], v[84:85], off offset:1920
	global_store_dwordx2 v[2:3], v[34:35], off offset:3456
	;; [unrolled: 1-line block ×3, first 2 shown]
.LBB0_45:
	s_endpgm
	.section	.rodata,"a",@progbits
	.p2align	6, 0x0
	.amdhsa_kernel fft_rtc_fwd_len528_factors_4_4_3_11_wgs_48_tpt_48_halfLds_sp_ip_CI_unitstride_sbrr_dirReg
		.amdhsa_group_segment_fixed_size 0
		.amdhsa_private_segment_fixed_size 0
		.amdhsa_kernarg_size 88
		.amdhsa_user_sgpr_count 2
		.amdhsa_user_sgpr_dispatch_ptr 0
		.amdhsa_user_sgpr_queue_ptr 0
		.amdhsa_user_sgpr_kernarg_segment_ptr 1
		.amdhsa_user_sgpr_dispatch_id 0
		.amdhsa_user_sgpr_kernarg_preload_length 0
		.amdhsa_user_sgpr_kernarg_preload_offset 0
		.amdhsa_user_sgpr_private_segment_size 0
		.amdhsa_uses_dynamic_stack 0
		.amdhsa_enable_private_segment 0
		.amdhsa_system_sgpr_workgroup_id_x 1
		.amdhsa_system_sgpr_workgroup_id_y 0
		.amdhsa_system_sgpr_workgroup_id_z 0
		.amdhsa_system_sgpr_workgroup_info 0
		.amdhsa_system_vgpr_workitem_id 0
		.amdhsa_next_free_vgpr 118
		.amdhsa_next_free_sgpr 32
		.amdhsa_accum_offset 120
		.amdhsa_reserve_vcc 1
		.amdhsa_float_round_mode_32 0
		.amdhsa_float_round_mode_16_64 0
		.amdhsa_float_denorm_mode_32 3
		.amdhsa_float_denorm_mode_16_64 3
		.amdhsa_dx10_clamp 1
		.amdhsa_ieee_mode 1
		.amdhsa_fp16_overflow 0
		.amdhsa_tg_split 0
		.amdhsa_exception_fp_ieee_invalid_op 0
		.amdhsa_exception_fp_denorm_src 0
		.amdhsa_exception_fp_ieee_div_zero 0
		.amdhsa_exception_fp_ieee_overflow 0
		.amdhsa_exception_fp_ieee_underflow 0
		.amdhsa_exception_fp_ieee_inexact 0
		.amdhsa_exception_int_div_zero 0
	.end_amdhsa_kernel
	.text
.Lfunc_end0:
	.size	fft_rtc_fwd_len528_factors_4_4_3_11_wgs_48_tpt_48_halfLds_sp_ip_CI_unitstride_sbrr_dirReg, .Lfunc_end0-fft_rtc_fwd_len528_factors_4_4_3_11_wgs_48_tpt_48_halfLds_sp_ip_CI_unitstride_sbrr_dirReg
                                        ; -- End function
	.section	.AMDGPU.csdata,"",@progbits
; Kernel info:
; codeLenInByte = 6596
; NumSgprs: 38
; NumVgprs: 118
; NumAgprs: 0
; TotalNumVgprs: 118
; ScratchSize: 0
; MemoryBound: 0
; FloatMode: 240
; IeeeMode: 1
; LDSByteSize: 0 bytes/workgroup (compile time only)
; SGPRBlocks: 4
; VGPRBlocks: 14
; NumSGPRsForWavesPerEU: 38
; NumVGPRsForWavesPerEU: 118
; AccumOffset: 120
; Occupancy: 4
; WaveLimiterHint : 1
; COMPUTE_PGM_RSRC2:SCRATCH_EN: 0
; COMPUTE_PGM_RSRC2:USER_SGPR: 2
; COMPUTE_PGM_RSRC2:TRAP_HANDLER: 0
; COMPUTE_PGM_RSRC2:TGID_X_EN: 1
; COMPUTE_PGM_RSRC2:TGID_Y_EN: 0
; COMPUTE_PGM_RSRC2:TGID_Z_EN: 0
; COMPUTE_PGM_RSRC2:TIDIG_COMP_CNT: 0
; COMPUTE_PGM_RSRC3_GFX90A:ACCUM_OFFSET: 29
; COMPUTE_PGM_RSRC3_GFX90A:TG_SPLIT: 0
	.text
	.p2alignl 6, 3212836864
	.fill 256, 4, 3212836864
	.type	__hip_cuid_e953e51f6711f30a,@object ; @__hip_cuid_e953e51f6711f30a
	.section	.bss,"aw",@nobits
	.globl	__hip_cuid_e953e51f6711f30a
__hip_cuid_e953e51f6711f30a:
	.byte	0                               ; 0x0
	.size	__hip_cuid_e953e51f6711f30a, 1

	.ident	"AMD clang version 19.0.0git (https://github.com/RadeonOpenCompute/llvm-project roc-6.4.0 25133 c7fe45cf4b819c5991fe208aaa96edf142730f1d)"
	.section	".note.GNU-stack","",@progbits
	.addrsig
	.addrsig_sym __hip_cuid_e953e51f6711f30a
	.amdgpu_metadata
---
amdhsa.kernels:
  - .agpr_count:     0
    .args:
      - .actual_access:  read_only
        .address_space:  global
        .offset:         0
        .size:           8
        .value_kind:     global_buffer
      - .offset:         8
        .size:           8
        .value_kind:     by_value
      - .actual_access:  read_only
        .address_space:  global
        .offset:         16
        .size:           8
        .value_kind:     global_buffer
      - .actual_access:  read_only
        .address_space:  global
        .offset:         24
        .size:           8
        .value_kind:     global_buffer
      - .offset:         32
        .size:           8
        .value_kind:     by_value
      - .actual_access:  read_only
        .address_space:  global
        .offset:         40
        .size:           8
        .value_kind:     global_buffer
      - .actual_access:  read_only
        .address_space:  global
        .offset:         48
        .size:           8
        .value_kind:     global_buffer
      - .offset:         56
        .size:           4
        .value_kind:     by_value
      - .actual_access:  read_only
        .address_space:  global
        .offset:         64
        .size:           8
        .value_kind:     global_buffer
      - .actual_access:  read_only
        .address_space:  global
        .offset:         72
        .size:           8
        .value_kind:     global_buffer
      - .address_space:  global
        .offset:         80
        .size:           8
        .value_kind:     global_buffer
    .group_segment_fixed_size: 0
    .kernarg_segment_align: 8
    .kernarg_segment_size: 88
    .language:       OpenCL C
    .language_version:
      - 2
      - 0
    .max_flat_workgroup_size: 48
    .name:           fft_rtc_fwd_len528_factors_4_4_3_11_wgs_48_tpt_48_halfLds_sp_ip_CI_unitstride_sbrr_dirReg
    .private_segment_fixed_size: 0
    .sgpr_count:     38
    .sgpr_spill_count: 0
    .symbol:         fft_rtc_fwd_len528_factors_4_4_3_11_wgs_48_tpt_48_halfLds_sp_ip_CI_unitstride_sbrr_dirReg.kd
    .uniform_work_group_size: 1
    .uses_dynamic_stack: false
    .vgpr_count:     118
    .vgpr_spill_count: 0
    .wavefront_size: 64
amdhsa.target:   amdgcn-amd-amdhsa--gfx950
amdhsa.version:
  - 1
  - 2
...

	.end_amdgpu_metadata
